;; amdgpu-corpus repo=ROCm/rocFFT kind=compiled arch=gfx1201 opt=O3
	.text
	.amdgcn_target "amdgcn-amd-amdhsa--gfx1201"
	.amdhsa_code_object_version 6
	.protected	fft_rtc_back_len768_factors_16_3_16_wgs_48_tpt_48_halfLds_dp_ip_CI_unitstride_sbrr_R2C_dirReg ; -- Begin function fft_rtc_back_len768_factors_16_3_16_wgs_48_tpt_48_halfLds_dp_ip_CI_unitstride_sbrr_R2C_dirReg
	.globl	fft_rtc_back_len768_factors_16_3_16_wgs_48_tpt_48_halfLds_dp_ip_CI_unitstride_sbrr_R2C_dirReg
	.p2align	8
	.type	fft_rtc_back_len768_factors_16_3_16_wgs_48_tpt_48_halfLds_dp_ip_CI_unitstride_sbrr_R2C_dirReg,@function
fft_rtc_back_len768_factors_16_3_16_wgs_48_tpt_48_halfLds_dp_ip_CI_unitstride_sbrr_R2C_dirReg: ; @fft_rtc_back_len768_factors_16_3_16_wgs_48_tpt_48_halfLds_dp_ip_CI_unitstride_sbrr_R2C_dirReg
; %bb.0:
	s_clause 0x2
	s_load_b128 s[4:7], s[0:1], 0x0
	s_load_b64 s[8:9], s[0:1], 0x50
	s_load_b64 s[10:11], s[0:1], 0x18
	v_mul_u32_u24_e32 v1, 0x556, v0
	v_mov_b32_e32 v3, 0
	s_delay_alu instid0(VALU_DEP_2) | instskip(NEXT) | instid1(VALU_DEP_1)
	v_lshrrev_b32_e32 v1, 16, v1
	v_add_nc_u32_e32 v5, ttmp9, v1
	v_mov_b32_e32 v1, 0
	v_mov_b32_e32 v2, 0
	;; [unrolled: 1-line block ×3, first 2 shown]
	s_wait_kmcnt 0x0
	v_cmp_lt_u64_e64 s2, s[6:7], 2
	s_delay_alu instid0(VALU_DEP_1)
	s_and_b32 vcc_lo, exec_lo, s2
	s_cbranch_vccnz .LBB0_8
; %bb.1:
	s_load_b64 s[2:3], s[0:1], 0x10
	v_mov_b32_e32 v1, 0
	v_mov_b32_e32 v2, 0
	s_add_nc_u64 s[12:13], s[10:11], 8
	s_mov_b64 s[14:15], 1
	s_wait_kmcnt 0x0
	s_add_nc_u64 s[16:17], s[2:3], 8
	s_mov_b32 s3, 0
.LBB0_2:                                ; =>This Inner Loop Header: Depth=1
	s_load_b64 s[18:19], s[16:17], 0x0
                                        ; implicit-def: $vgpr7_vgpr8
	s_mov_b32 s2, exec_lo
	s_wait_kmcnt 0x0
	v_or_b32_e32 v4, s19, v6
	s_delay_alu instid0(VALU_DEP_1)
	v_cmpx_ne_u64_e32 0, v[3:4]
	s_wait_alu 0xfffe
	s_xor_b32 s20, exec_lo, s2
	s_cbranch_execz .LBB0_4
; %bb.3:                                ;   in Loop: Header=BB0_2 Depth=1
	s_cvt_f32_u32 s2, s18
	s_cvt_f32_u32 s21, s19
	s_sub_nc_u64 s[24:25], 0, s[18:19]
	s_wait_alu 0xfffe
	s_delay_alu instid0(SALU_CYCLE_1) | instskip(SKIP_1) | instid1(SALU_CYCLE_2)
	s_fmamk_f32 s2, s21, 0x4f800000, s2
	s_wait_alu 0xfffe
	v_s_rcp_f32 s2, s2
	s_delay_alu instid0(TRANS32_DEP_1) | instskip(SKIP_1) | instid1(SALU_CYCLE_2)
	s_mul_f32 s2, s2, 0x5f7ffffc
	s_wait_alu 0xfffe
	s_mul_f32 s21, s2, 0x2f800000
	s_wait_alu 0xfffe
	s_delay_alu instid0(SALU_CYCLE_2) | instskip(SKIP_1) | instid1(SALU_CYCLE_2)
	s_trunc_f32 s21, s21
	s_wait_alu 0xfffe
	s_fmamk_f32 s2, s21, 0xcf800000, s2
	s_cvt_u32_f32 s23, s21
	s_wait_alu 0xfffe
	s_delay_alu instid0(SALU_CYCLE_1) | instskip(SKIP_1) | instid1(SALU_CYCLE_2)
	s_cvt_u32_f32 s22, s2
	s_wait_alu 0xfffe
	s_mul_u64 s[26:27], s[24:25], s[22:23]
	s_wait_alu 0xfffe
	s_mul_hi_u32 s29, s22, s27
	s_mul_i32 s28, s22, s27
	s_mul_hi_u32 s2, s22, s26
	s_mul_i32 s30, s23, s26
	s_wait_alu 0xfffe
	s_add_nc_u64 s[28:29], s[2:3], s[28:29]
	s_mul_hi_u32 s21, s23, s26
	s_mul_hi_u32 s31, s23, s27
	s_add_co_u32 s2, s28, s30
	s_wait_alu 0xfffe
	s_add_co_ci_u32 s2, s29, s21
	s_mul_i32 s26, s23, s27
	s_add_co_ci_u32 s27, s31, 0
	s_wait_alu 0xfffe
	s_add_nc_u64 s[26:27], s[2:3], s[26:27]
	s_wait_alu 0xfffe
	v_add_co_u32 v4, s2, s22, s26
	s_delay_alu instid0(VALU_DEP_1) | instskip(SKIP_1) | instid1(VALU_DEP_1)
	s_cmp_lg_u32 s2, 0
	s_add_co_ci_u32 s23, s23, s27
	v_readfirstlane_b32 s22, v4
	s_wait_alu 0xfffe
	s_delay_alu instid0(VALU_DEP_1)
	s_mul_u64 s[24:25], s[24:25], s[22:23]
	s_wait_alu 0xfffe
	s_mul_hi_u32 s27, s22, s25
	s_mul_i32 s26, s22, s25
	s_mul_hi_u32 s2, s22, s24
	s_mul_i32 s28, s23, s24
	s_wait_alu 0xfffe
	s_add_nc_u64 s[26:27], s[2:3], s[26:27]
	s_mul_hi_u32 s21, s23, s24
	s_mul_hi_u32 s22, s23, s25
	s_wait_alu 0xfffe
	s_add_co_u32 s2, s26, s28
	s_add_co_ci_u32 s2, s27, s21
	s_mul_i32 s24, s23, s25
	s_add_co_ci_u32 s25, s22, 0
	s_wait_alu 0xfffe
	s_add_nc_u64 s[24:25], s[2:3], s[24:25]
	s_wait_alu 0xfffe
	v_add_co_u32 v4, s2, v4, s24
	s_delay_alu instid0(VALU_DEP_1) | instskip(SKIP_1) | instid1(VALU_DEP_1)
	s_cmp_lg_u32 s2, 0
	s_add_co_ci_u32 s2, s23, s25
	v_mul_hi_u32 v13, v5, v4
	s_wait_alu 0xfffe
	v_mad_co_u64_u32 v[7:8], null, v5, s2, 0
	v_mad_co_u64_u32 v[9:10], null, v6, v4, 0
	;; [unrolled: 1-line block ×3, first 2 shown]
	s_delay_alu instid0(VALU_DEP_3) | instskip(SKIP_1) | instid1(VALU_DEP_4)
	v_add_co_u32 v4, vcc_lo, v13, v7
	s_wait_alu 0xfffd
	v_add_co_ci_u32_e32 v7, vcc_lo, 0, v8, vcc_lo
	s_delay_alu instid0(VALU_DEP_2) | instskip(SKIP_1) | instid1(VALU_DEP_2)
	v_add_co_u32 v4, vcc_lo, v4, v9
	s_wait_alu 0xfffd
	v_add_co_ci_u32_e32 v4, vcc_lo, v7, v10, vcc_lo
	s_wait_alu 0xfffd
	v_add_co_ci_u32_e32 v7, vcc_lo, 0, v12, vcc_lo
	s_delay_alu instid0(VALU_DEP_2) | instskip(SKIP_1) | instid1(VALU_DEP_2)
	v_add_co_u32 v4, vcc_lo, v4, v11
	s_wait_alu 0xfffd
	v_add_co_ci_u32_e32 v9, vcc_lo, 0, v7, vcc_lo
	s_delay_alu instid0(VALU_DEP_2) | instskip(SKIP_1) | instid1(VALU_DEP_3)
	v_mul_lo_u32 v10, s19, v4
	v_mad_co_u64_u32 v[7:8], null, s18, v4, 0
	v_mul_lo_u32 v11, s18, v9
	s_delay_alu instid0(VALU_DEP_2) | instskip(NEXT) | instid1(VALU_DEP_2)
	v_sub_co_u32 v7, vcc_lo, v5, v7
	v_add3_u32 v8, v8, v11, v10
	s_delay_alu instid0(VALU_DEP_1) | instskip(SKIP_1) | instid1(VALU_DEP_1)
	v_sub_nc_u32_e32 v10, v6, v8
	s_wait_alu 0xfffd
	v_subrev_co_ci_u32_e64 v10, s2, s19, v10, vcc_lo
	v_add_co_u32 v11, s2, v4, 2
	s_wait_alu 0xf1ff
	v_add_co_ci_u32_e64 v12, s2, 0, v9, s2
	v_sub_co_u32 v13, s2, v7, s18
	v_sub_co_ci_u32_e32 v8, vcc_lo, v6, v8, vcc_lo
	s_wait_alu 0xf1ff
	v_subrev_co_ci_u32_e64 v10, s2, 0, v10, s2
	s_delay_alu instid0(VALU_DEP_3) | instskip(NEXT) | instid1(VALU_DEP_3)
	v_cmp_le_u32_e32 vcc_lo, s18, v13
	v_cmp_eq_u32_e64 s2, s19, v8
	s_wait_alu 0xfffd
	v_cndmask_b32_e64 v13, 0, -1, vcc_lo
	v_cmp_le_u32_e32 vcc_lo, s19, v10
	s_wait_alu 0xfffd
	v_cndmask_b32_e64 v14, 0, -1, vcc_lo
	v_cmp_le_u32_e32 vcc_lo, s18, v7
	;; [unrolled: 3-line block ×3, first 2 shown]
	s_wait_alu 0xfffd
	v_cndmask_b32_e64 v15, 0, -1, vcc_lo
	v_cmp_eq_u32_e32 vcc_lo, s19, v10
	s_wait_alu 0xf1ff
	s_delay_alu instid0(VALU_DEP_2)
	v_cndmask_b32_e64 v7, v15, v7, s2
	s_wait_alu 0xfffd
	v_cndmask_b32_e32 v10, v14, v13, vcc_lo
	v_add_co_u32 v13, vcc_lo, v4, 1
	s_wait_alu 0xfffd
	v_add_co_ci_u32_e32 v14, vcc_lo, 0, v9, vcc_lo
	s_delay_alu instid0(VALU_DEP_3) | instskip(SKIP_2) | instid1(VALU_DEP_3)
	v_cmp_ne_u32_e32 vcc_lo, 0, v10
	s_wait_alu 0xfffd
	v_cndmask_b32_e32 v10, v13, v11, vcc_lo
	v_cndmask_b32_e32 v8, v14, v12, vcc_lo
	v_cmp_ne_u32_e32 vcc_lo, 0, v7
	s_wait_alu 0xfffd
	s_delay_alu instid0(VALU_DEP_2)
	v_dual_cndmask_b32 v7, v4, v10 :: v_dual_cndmask_b32 v8, v9, v8
.LBB0_4:                                ;   in Loop: Header=BB0_2 Depth=1
	s_wait_alu 0xfffe
	s_and_not1_saveexec_b32 s2, s20
	s_cbranch_execz .LBB0_6
; %bb.5:                                ;   in Loop: Header=BB0_2 Depth=1
	v_cvt_f32_u32_e32 v4, s18
	s_sub_co_i32 s20, 0, s18
	s_delay_alu instid0(VALU_DEP_1) | instskip(NEXT) | instid1(TRANS32_DEP_1)
	v_rcp_iflag_f32_e32 v4, v4
	v_mul_f32_e32 v4, 0x4f7ffffe, v4
	s_delay_alu instid0(VALU_DEP_1) | instskip(SKIP_1) | instid1(VALU_DEP_1)
	v_cvt_u32_f32_e32 v4, v4
	s_wait_alu 0xfffe
	v_mul_lo_u32 v7, s20, v4
	s_delay_alu instid0(VALU_DEP_1) | instskip(NEXT) | instid1(VALU_DEP_1)
	v_mul_hi_u32 v7, v4, v7
	v_add_nc_u32_e32 v4, v4, v7
	s_delay_alu instid0(VALU_DEP_1) | instskip(NEXT) | instid1(VALU_DEP_1)
	v_mul_hi_u32 v4, v5, v4
	v_mul_lo_u32 v7, v4, s18
	v_add_nc_u32_e32 v8, 1, v4
	s_delay_alu instid0(VALU_DEP_2) | instskip(NEXT) | instid1(VALU_DEP_1)
	v_sub_nc_u32_e32 v7, v5, v7
	v_subrev_nc_u32_e32 v9, s18, v7
	v_cmp_le_u32_e32 vcc_lo, s18, v7
	s_wait_alu 0xfffd
	s_delay_alu instid0(VALU_DEP_2) | instskip(NEXT) | instid1(VALU_DEP_1)
	v_dual_cndmask_b32 v7, v7, v9 :: v_dual_cndmask_b32 v4, v4, v8
	v_cmp_le_u32_e32 vcc_lo, s18, v7
	s_delay_alu instid0(VALU_DEP_2) | instskip(SKIP_1) | instid1(VALU_DEP_1)
	v_add_nc_u32_e32 v8, 1, v4
	s_wait_alu 0xfffd
	v_dual_cndmask_b32 v7, v4, v8 :: v_dual_mov_b32 v8, v3
.LBB0_6:                                ;   in Loop: Header=BB0_2 Depth=1
	s_wait_alu 0xfffe
	s_or_b32 exec_lo, exec_lo, s2
	s_load_b64 s[20:21], s[12:13], 0x0
	s_delay_alu instid0(VALU_DEP_1)
	v_mul_lo_u32 v4, v8, s18
	v_mul_lo_u32 v11, v7, s19
	v_mad_co_u64_u32 v[9:10], null, v7, s18, 0
	s_add_nc_u64 s[14:15], s[14:15], 1
	s_add_nc_u64 s[12:13], s[12:13], 8
	s_wait_alu 0xfffe
	v_cmp_ge_u64_e64 s2, s[14:15], s[6:7]
	s_add_nc_u64 s[16:17], s[16:17], 8
	s_delay_alu instid0(VALU_DEP_2) | instskip(NEXT) | instid1(VALU_DEP_3)
	v_add3_u32 v4, v10, v11, v4
	v_sub_co_u32 v5, vcc_lo, v5, v9
	s_wait_alu 0xfffd
	s_delay_alu instid0(VALU_DEP_2) | instskip(SKIP_3) | instid1(VALU_DEP_2)
	v_sub_co_ci_u32_e32 v4, vcc_lo, v6, v4, vcc_lo
	s_and_b32 vcc_lo, exec_lo, s2
	s_wait_kmcnt 0x0
	v_mul_lo_u32 v6, s21, v5
	v_mul_lo_u32 v4, s20, v4
	v_mad_co_u64_u32 v[1:2], null, s20, v5, v[1:2]
	s_delay_alu instid0(VALU_DEP_1)
	v_add3_u32 v2, v6, v2, v4
	s_wait_alu 0xfffe
	s_cbranch_vccnz .LBB0_9
; %bb.7:                                ;   in Loop: Header=BB0_2 Depth=1
	v_dual_mov_b32 v5, v7 :: v_dual_mov_b32 v6, v8
	s_branch .LBB0_2
.LBB0_8:
	v_dual_mov_b32 v8, v6 :: v_dual_mov_b32 v7, v5
.LBB0_9:
	s_lshl_b64 s[2:3], s[6:7], 3
	v_mul_hi_u32 v3, 0x5555556, v0
	s_wait_alu 0xfffe
	s_add_nc_u64 s[2:3], s[10:11], s[2:3]
	s_load_b64 s[0:1], s[0:1], 0x20
	s_load_b64 s[2:3], s[2:3], 0x0
	s_delay_alu instid0(VALU_DEP_1) | instskip(NEXT) | instid1(VALU_DEP_1)
	v_mul_u32_u24_e32 v3, 48, v3
	v_sub_nc_u32_e32 v72, v0, v3
	s_delay_alu instid0(VALU_DEP_1)
	v_add_nc_u32_e32 v77, 48, v72
	v_add_nc_u32_e32 v81, 0x60, v72
	;; [unrolled: 1-line block ×3, first 2 shown]
	v_or_b32_e32 v79, 0xc0, v72
	s_wait_kmcnt 0x0
	v_cmp_gt_u64_e32 vcc_lo, s[0:1], v[7:8]
	v_mul_lo_u32 v3, s2, v8
	v_mul_lo_u32 v4, s3, v7
	v_mad_co_u64_u32 v[0:1], null, s2, v7, v[1:2]
	v_cmp_le_u64_e64 s0, s[0:1], v[7:8]
	v_add_nc_u32_e32 v76, 0xf0, v72
	s_delay_alu instid0(VALU_DEP_3) | instskip(NEXT) | instid1(VALU_DEP_3)
	v_add3_u32 v1, v4, v1, v3
	s_and_saveexec_b32 s1, s0
	s_wait_alu 0xfffe
	s_xor_b32 s0, exec_lo, s1
; %bb.10:
	v_add_nc_u32_e32 v77, 48, v72
	v_add_nc_u32_e32 v81, 0x60, v72
	;; [unrolled: 1-line block ×3, first 2 shown]
	v_or_b32_e32 v79, 0xc0, v72
	v_add_nc_u32_e32 v76, 0xf0, v72
; %bb.11:
	s_wait_alu 0xfffe
	s_or_saveexec_b32 s1, s0
	v_lshlrev_b64_e32 v[74:75], 4, v[0:1]
	v_lshl_add_u32 v83, v72, 4, 0
	s_wait_alu 0xfffe
	s_xor_b32 exec_lo, exec_lo, s1
	s_cbranch_execz .LBB0_13
; %bb.12:
	v_mov_b32_e32 v73, 0
	v_add_co_u32 v2, s0, s8, v74
	s_wait_alu 0xf1ff
	v_add_co_ci_u32_e64 v3, s0, s9, v75, s0
	s_delay_alu instid0(VALU_DEP_3) | instskip(NEXT) | instid1(VALU_DEP_1)
	v_lshlrev_b64_e32 v[0:1], 4, v[72:73]
	v_add_co_u32 v60, s0, v2, v0
	s_wait_alu 0xf1ff
	s_delay_alu instid0(VALU_DEP_2)
	v_add_co_ci_u32_e64 v61, s0, v3, v1, s0
	s_clause 0xf
	global_load_b128 v[0:3], v[60:61], off
	global_load_b128 v[4:7], v[60:61], off offset:768
	global_load_b128 v[8:11], v[60:61], off offset:1536
	;; [unrolled: 1-line block ×15, first 2 shown]
	s_wait_loadcnt 0xf
	ds_store_b128 v83, v[0:3]
	s_wait_loadcnt 0xe
	ds_store_b128 v83, v[4:7] offset:768
	s_wait_loadcnt 0xd
	ds_store_b128 v83, v[8:11] offset:1536
	;; [unrolled: 2-line block ×15, first 2 shown]
.LBB0_13:
	s_or_b32 exec_lo, exec_lo, s1
	global_wb scope:SCOPE_SE
	s_wait_dscnt 0x0
	s_barrier_signal -1
	s_barrier_wait -1
	global_inv scope:SCOPE_SE
	ds_load_b128 v[0:3], v83 offset:6144
	ds_load_b128 v[4:7], v83 offset:3072
	;; [unrolled: 1-line block ×3, first 2 shown]
	ds_load_b128 v[12:15], v83
	ds_load_b128 v[16:19], v83 offset:1536
	ds_load_b128 v[20:23], v83 offset:7680
	;; [unrolled: 1-line block ×12, first 2 shown]
	s_mov_b32 s0, 0x667f3bcd
	s_mov_b32 s1, 0xbfe6a09e
	;; [unrolled: 1-line block ×3, first 2 shown]
	s_wait_alu 0xfffe
	s_mov_b32 s2, s0
	s_mov_b32 s6, 0xcf328d46
	s_mov_b32 s7, 0xbfed906b
	s_wait_dscnt 0xd
	v_add_f64_e64 v[8:9], v[4:5], -v[8:9]
	s_wait_dscnt 0xc
	v_add_f64_e64 v[0:1], v[12:13], -v[0:1]
	v_add_f64_e64 v[2:3], v[14:15], -v[2:3]
	;; [unrolled: 1-line block ×3, first 2 shown]
	s_wait_dscnt 0xa
	v_add_f64_e64 v[20:21], v[16:17], -v[20:21]
	v_add_f64_e64 v[22:23], v[18:19], -v[22:23]
	s_wait_dscnt 0x8
	v_add_f64_e64 v[28:29], v[24:25], -v[28:29]
	v_add_f64_e64 v[30:31], v[26:27], -v[30:31]
	;; [unrolled: 3-line block ×3, first 2 shown]
	s_wait_dscnt 0x4
	v_add_f64_e64 v[44:45], v[40:41], -v[44:45]
	s_wait_dscnt 0x2
	v_add_f64_e64 v[52:53], v[48:49], -v[52:53]
	v_add_f64_e64 v[54:55], v[50:51], -v[54:55]
	s_wait_dscnt 0x0
	v_add_f64_e64 v[62:63], v[58:59], -v[62:63]
	v_add_f64_e64 v[60:61], v[56:57], -v[60:61]
	;; [unrolled: 1-line block ×3, first 2 shown]
	s_mov_b32 s11, 0x3fed906b
	s_wait_alu 0xfffe
	s_mov_b32 s10, s6
	s_mov_b32 s12, 0xa6aea964
	;; [unrolled: 1-line block ×5, first 2 shown]
	global_wb scope:SCOPE_SE
	s_barrier_signal -1
	s_barrier_wait -1
	global_inv scope:SCOPE_SE
	v_fma_f64 v[4:5], v[4:5], 2.0, -v[8:9]
	v_fma_f64 v[12:13], v[12:13], 2.0, -v[0:1]
	v_add_f64_e64 v[66:67], v[2:3], -v[8:9]
	v_add_f64_e32 v[64:65], v[0:1], v[10:11]
	v_fma_f64 v[14:15], v[14:15], 2.0, -v[2:3]
	v_fma_f64 v[6:7], v[6:7], 2.0, -v[10:11]
	v_add_f64_e64 v[70:71], v[22:23], -v[28:29]
	v_add_f64_e32 v[68:69], v[20:21], v[30:31]
	v_fma_f64 v[8:9], v[16:17], 2.0, -v[20:21]
	v_fma_f64 v[10:11], v[18:19], 2.0, -v[22:23]
	;; [unrolled: 1-line block ×4, first 2 shown]
	v_add_f64_e32 v[86:87], v[44:45], v[54:55]
	v_add_f64_e32 v[84:85], v[36:37], v[62:63]
	v_add_f64_e64 v[88:89], v[38:39], -v[60:61]
	v_add_f64_e64 v[90:91], v[46:47], -v[52:53]
	v_fma_f64 v[24:25], v[32:33], 2.0, -v[36:37]
	v_fma_f64 v[26:27], v[40:41], 2.0, -v[44:45]
	;; [unrolled: 1-line block ×8, first 2 shown]
	v_add_f64_e64 v[4:5], v[12:13], -v[4:5]
	v_fma_f64 v[2:3], v[2:3], 2.0, -v[66:67]
	v_fma_f64 v[0:1], v[0:1], 2.0, -v[64:65]
	v_add_f64_e64 v[6:7], v[14:15], -v[6:7]
	v_fma_f64 v[22:23], v[22:23], 2.0, -v[70:71]
	v_fma_f64 v[20:21], v[20:21], 2.0, -v[68:69]
	v_fma_f64 v[48:49], v[68:69], s[2:3], v[64:65]
	v_fma_f64 v[50:51], v[70:71], s[2:3], v[66:67]
	v_add_f64_e64 v[16:17], v[8:9], -v[16:17]
	v_add_f64_e64 v[18:19], v[10:11], -v[18:19]
	v_fma_f64 v[44:45], v[44:45], 2.0, -v[86:87]
	v_fma_f64 v[36:37], v[36:37], 2.0, -v[84:85]
	;; [unrolled: 1-line block ×4, first 2 shown]
	v_fma_f64 v[52:53], v[86:87], s[2:3], v[84:85]
	v_fma_f64 v[54:55], v[90:91], s[2:3], v[88:89]
	v_add_f64_e64 v[28:29], v[26:27], -v[28:29]
	v_add_f64_e64 v[32:33], v[24:25], -v[32:33]
	;; [unrolled: 1-line block ×4, first 2 shown]
	v_fma_f64 v[12:13], v[12:13], 2.0, -v[4:5]
	v_fma_f64 v[14:15], v[14:15], 2.0, -v[6:7]
	v_fma_f64 v[58:59], v[22:23], s[0:1], v[2:3]
	v_fma_f64 v[56:57], v[20:21], s[0:1], v[0:1]
	;; [unrolled: 1-line block ×4, first 2 shown]
	v_fma_f64 v[8:9], v[8:9], 2.0, -v[16:17]
	v_fma_f64 v[10:11], v[10:11], 2.0, -v[18:19]
	v_add_f64_e32 v[92:93], v[4:5], v[18:19]
	v_fma_f64 v[60:61], v[44:45], s[0:1], v[36:37]
	v_add_f64_e64 v[94:95], v[6:7], -v[16:17]
	v_fma_f64 v[62:63], v[46:47], s[0:1], v[38:39]
	v_fma_f64 v[26:27], v[26:27], 2.0, -v[28:29]
	v_fma_f64 v[24:25], v[24:25], 2.0, -v[32:33]
	v_add_f64_e32 v[16:17], v[32:33], v[40:41]
	v_add_f64_e64 v[18:19], v[42:43], -v[28:29]
	v_fma_f64 v[28:29], v[90:91], s[2:3], v[52:53]
	v_fma_f64 v[52:53], v[86:87], s[0:1], v[54:55]
	v_fma_f64 v[30:31], v[30:31], 2.0, -v[42:43]
	v_fma_f64 v[34:35], v[34:35], 2.0, -v[40:41]
	v_fma_f64 v[54:55], v[22:23], s[2:3], v[56:57]
	v_fma_f64 v[56:57], v[20:21], s[0:1], v[58:59]
	v_fma_f64 v[64:65], v[64:65], 2.0, -v[48:49]
	v_fma_f64 v[66:67], v[66:67], 2.0, -v[50:51]
	v_fma_f64 v[40:41], v[46:47], s[2:3], v[60:61]
	v_fma_f64 v[58:59], v[6:7], 2.0, -v[94:95]
	v_fma_f64 v[21:22], v[44:45], s[0:1], v[62:63]
	v_fma_f64 v[45:46], v[4:5], 2.0, -v[92:93]
	v_add_f64_e64 v[60:61], v[12:13], -v[8:9]
	v_add_f64_e64 v[62:63], v[14:15], -v[10:11]
	v_mad_u32_u24 v4, 0xf0, v72, v83
	v_add_f64_e64 v[26:27], v[24:25], -v[26:27]
	v_fma_f64 v[32:33], v[32:33], 2.0, -v[16:17]
	v_fma_f64 v[42:43], v[42:43], 2.0, -v[18:19]
	;; [unrolled: 1-line block ×4, first 2 shown]
	v_fma_f64 v[88:89], v[52:53], s[10:11], v[50:51]
	v_add_f64_e64 v[9:10], v[30:31], -v[34:35]
	v_fma_f64 v[84:85], v[0:1], 2.0, -v[54:55]
	v_fma_f64 v[86:87], v[2:3], 2.0, -v[56:57]
	v_fma_f64 v[0:1], v[16:17], s[2:3], v[92:93]
	v_fma_f64 v[2:3], v[18:19], s[2:3], v[94:95]
	v_fma_f64 v[34:35], v[36:37], 2.0, -v[40:41]
	v_fma_f64 v[106:107], v[40:41], s[12:13], v[54:55]
	v_fma_f64 v[36:37], v[38:39], 2.0, -v[21:22]
	v_fma_f64 v[38:39], v[28:29], s[10:11], v[48:49]
	v_fma_f64 v[108:109], v[21:22], s[12:13], v[56:57]
	v_fma_f64 v[98:99], v[12:13], 2.0, -v[60:61]
	v_fma_f64 v[100:101], v[14:15], 2.0, -v[62:63]
	;; [unrolled: 1-line block ×3, first 2 shown]
	v_add_f64_e64 v[11:12], v[62:63], -v[26:27]
	v_fma_f64 v[90:91], v[32:33], s[0:1], v[45:46]
	v_fma_f64 v[96:97], v[42:43], s[0:1], v[58:59]
	s_wait_alu 0xfffe
	v_fma_f64 v[102:103], v[68:69], s[14:15], v[64:65]
	v_fma_f64 v[104:105], v[70:71], s[14:15], v[66:67]
	v_fma_f64 v[30:31], v[30:31], 2.0, -v[9:10]
	v_add_f64_e32 v[9:10], v[60:61], v[9:10]
	v_fma_f64 v[5:6], v[18:19], s[2:3], v[0:1]
	v_fma_f64 v[7:8], v[16:17], s[0:1], v[2:3]
	;; [unrolled: 1-line block ×3, first 2 shown]
	v_lshl_add_u32 v88, v77, 4, 0
	v_fma_f64 v[112:113], v[34:35], s[6:7], v[84:85]
	v_fma_f64 v[21:22], v[21:22], s[10:11], v[106:107]
	;; [unrolled: 1-line block ×5, first 2 shown]
	v_add_f64_e64 v[25:26], v[98:99], -v[110:111]
	v_fma_f64 v[13:14], v[42:43], s[2:3], v[90:91]
	v_fma_f64 v[15:16], v[32:33], s[0:1], v[96:97]
	;; [unrolled: 1-line block ×4, first 2 shown]
	v_fma_f64 v[43:44], v[62:63], 2.0, -v[11:12]
	v_add_f64_e64 v[27:28], v[100:101], -v[30:31]
	v_fma_f64 v[41:42], v[60:61], 2.0, -v[9:10]
	v_cmp_gt_u32_e64 s0, 16, v72
	v_fma_f64 v[39:40], v[50:51], 2.0, -v[2:3]
	v_fma_f64 v[29:30], v[36:37], s[12:13], v[112:113]
	v_fma_f64 v[53:54], v[54:55], 2.0, -v[21:22]
	v_fma_f64 v[31:32], v[34:35], s[14:15], v[114:115]
	v_fma_f64 v[33:34], v[92:93], 2.0, -v[5:6]
	v_fma_f64 v[35:36], v[94:95], 2.0, -v[7:8]
	;; [unrolled: 1-line block ×11, first 2 shown]
	v_lshl_add_u32 v85, v79, 4, 0
	v_fma_f64 v[63:64], v[86:87], 2.0, -v[31:32]
	v_lshl_add_u32 v87, v81, 4, 0
	v_lshl_add_u32 v86, v80, 4, 0
	;; [unrolled: 1-line block ×3, first 2 shown]
	ds_store_b128 v4, v[5:8] offset:224
	ds_store_b128 v4, v[0:3] offset:240
	;; [unrolled: 1-line block ×14, first 2 shown]
	ds_store_b128 v4, v[57:60]
	ds_store_b128 v4, v[61:64] offset:16
	global_wb scope:SCOPE_SE
	s_wait_dscnt 0x0
	s_barrier_signal -1
	s_barrier_wait -1
	global_inv scope:SCOPE_SE
	ds_load_b128 v[28:31], v83
	ds_load_b128 v[68:71], v83 offset:4096
	ds_load_b128 v[60:63], v83 offset:8192
	;; [unrolled: 1-line block ×3, first 2 shown]
	ds_load_b128 v[24:27], v88
	ds_load_b128 v[16:19], v87
	ds_load_b128 v[64:67], v83 offset:4864
	ds_load_b128 v[48:51], v83 offset:5632
	;; [unrolled: 1-line block ×4, first 2 shown]
	ds_load_b128 v[20:23], v86
	ds_load_b128 v[12:15], v85
	ds_load_b128 v[56:59], v83 offset:6400
	ds_load_b128 v[32:35], v83 offset:7168
	;; [unrolled: 1-line block ×3, first 2 shown]
                                        ; implicit-def: $vgpr10_vgpr11
                                        ; implicit-def: $vgpr6_vgpr7
	s_and_saveexec_b32 s1, s0
	s_cbranch_execz .LBB0_15
; %bb.14:
	v_mad_i32_i24 v8, 0xffffff10, v72, v4
	ds_load_b128 v[0:3], v84
	ds_load_b128 v[4:7], v8 offset:7936
	ds_load_b128 v[8:11], v8 offset:12032
.LBB0_15:
	s_wait_alu 0xfffe
	s_or_b32 exec_lo, exec_lo, s1
	v_and_b32_e32 v73, 15, v72
	s_mov_b32 s2, 0xe8584caa
	s_mov_b32 s3, 0xbfebb67a
	;; [unrolled: 1-line block ×3, first 2 shown]
	s_wait_alu 0xfffe
	s_mov_b32 s6, s2
	v_lshlrev_b32_e32 v78, 5, v73
	v_lshrrev_b32_e32 v82, 4, v77
	s_clause 0x1
	global_load_b128 v[89:92], v78, s[4:5]
	global_load_b128 v[93:96], v78, s[4:5] offset:16
	v_lshrrev_b32_e32 v78, 4, v72
	v_mul_lo_u32 v82, v82, 48
	global_wb scope:SCOPE_SE
	s_wait_loadcnt_dscnt 0x0
	s_barrier_signal -1
	s_barrier_wait -1
	v_mul_u32_u24_e32 v78, 48, v78
	global_inv scope:SCOPE_SE
	v_or_b32_e32 v82, v82, v73
	v_or_b32_e32 v78, v78, v73
	s_delay_alu instid0(VALU_DEP_2) | instskip(NEXT) | instid1(VALU_DEP_2)
	v_lshl_add_u32 v82, v82, 4, 0
	v_lshl_add_u32 v78, v78, 4, 0
	v_mul_f64_e32 v[97:98], v[70:71], v[91:92]
	v_mul_f64_e32 v[99:100], v[68:69], v[91:92]
	;; [unrolled: 1-line block ×20, first 2 shown]
	v_fma_f64 v[68:69], v[68:69], v[89:90], v[97:98]
	v_fma_f64 v[70:71], v[70:71], v[89:90], -v[99:100]
	v_fma_f64 v[60:61], v[60:61], v[93:94], v[103:104]
	v_fma_f64 v[62:63], v[62:63], v[93:94], -v[107:108]
	v_fma_f64 v[64:65], v[64:65], v[89:90], v[101:102]
	v_fma_f64 v[66:67], v[66:67], v[89:90], -v[105:106]
	v_fma_f64 v[44:45], v[44:45], v[93:94], v[111:112]
	v_fma_f64 v[46:47], v[46:47], v[93:94], -v[115:116]
	v_fma_f64 v[48:49], v[48:49], v[89:90], v[109:110]
	v_fma_f64 v[50:51], v[50:51], v[89:90], -v[113:114]
	v_fma_f64 v[52:53], v[52:53], v[93:94], v[119:120]
	v_fma_f64 v[54:55], v[54:55], v[93:94], -v[123:124]
	v_fma_f64 v[56:57], v[56:57], v[89:90], v[117:118]
	v_fma_f64 v[58:59], v[58:59], v[89:90], -v[121:122]
	v_fma_f64 v[40:41], v[40:41], v[93:94], v[127:128]
	v_fma_f64 v[42:43], v[42:43], v[93:94], -v[129:130]
	v_fma_f64 v[32:33], v[32:33], v[89:90], v[125:126]
	v_fma_f64 v[36:37], v[36:37], v[93:94], v[131:132]
	v_fma_f64 v[34:35], v[34:35], v[89:90], -v[91:92]
	v_fma_f64 v[38:39], v[38:39], v[93:94], -v[95:96]
	v_add_f64_e32 v[109:110], v[28:29], v[68:69]
	v_add_f64_e32 v[111:112], v[30:31], v[70:71]
	;; [unrolled: 1-line block ×4, first 2 shown]
	v_add_f64_e64 v[70:71], v[70:71], -v[62:63]
	v_add_f64_e64 v[68:69], v[68:69], -v[60:61]
	v_add_f64_e32 v[93:94], v[64:65], v[44:45]
	v_add_f64_e32 v[95:96], v[66:67], v[46:47]
	;; [unrolled: 1-line block ×14, first 2 shown]
	v_add_f64_e64 v[66:67], v[66:67], -v[46:47]
	v_add_f64_e64 v[64:65], v[64:65], -v[44:45]
	v_add_f64_e32 v[117:118], v[16:17], v[48:49]
	v_add_f64_e32 v[119:120], v[18:19], v[50:51]
	v_add_f64_e64 v[50:51], v[50:51], -v[54:55]
	v_add_f64_e64 v[129:130], v[48:49], -v[52:53]
	;; [unrolled: 1-line block ×6, first 2 shown]
	v_fma_f64 v[89:90], v[89:90], -0.5, v[28:29]
	v_fma_f64 v[91:92], v[91:92], -0.5, v[30:31]
	;; [unrolled: 1-line block ×6, first 2 shown]
	v_add_f64_e32 v[18:19], v[115:116], v[46:47]
	v_add_f64_e32 v[16:17], v[113:114], v[44:45]
	v_fma_f64 v[101:102], v[101:102], -0.5, v[20:21]
	v_fma_f64 v[103:104], v[103:104], -0.5, v[22:23]
	v_add_f64_e32 v[28:29], v[125:126], v[36:37]
	v_fma_f64 v[105:106], v[105:106], -0.5, v[12:13]
	v_add_f64_e32 v[12:13], v[109:110], v[60:61]
	;; [unrolled: 2-line block ×3, first 2 shown]
	v_add_f64_e32 v[30:31], v[127:128], v[38:39]
	v_add_f64_e32 v[24:25], v[121:122], v[40:41]
	;; [unrolled: 1-line block ×5, first 2 shown]
	v_fma_f64 v[32:33], v[70:71], s[2:3], v[89:90]
	s_wait_alu 0xfffe
	v_fma_f64 v[34:35], v[68:69], s[6:7], v[91:92]
	v_fma_f64 v[36:37], v[70:71], s[6:7], v[89:90]
	;; [unrolled: 1-line block ×19, first 2 shown]
	v_lshrrev_b32_e32 v89, 4, v81
	v_lshrrev_b32_e32 v90, 4, v80
	;; [unrolled: 1-line block ×3, first 2 shown]
	s_delay_alu instid0(VALU_DEP_3) | instskip(NEXT) | instid1(VALU_DEP_3)
	v_mul_lo_u32 v89, v89, 48
	v_mul_lo_u32 v90, v90, 48
	s_delay_alu instid0(VALU_DEP_3) | instskip(NEXT) | instid1(VALU_DEP_3)
	v_mul_lo_u32 v91, v91, 48
	v_or_b32_e32 v89, v89, v73
	s_delay_alu instid0(VALU_DEP_3) | instskip(NEXT) | instid1(VALU_DEP_3)
	v_or_b32_e32 v90, v90, v73
	v_or_b32_e32 v73, v91, v73
	s_delay_alu instid0(VALU_DEP_3) | instskip(NEXT) | instid1(VALU_DEP_3)
	v_lshl_add_u32 v89, v89, 4, 0
	v_lshl_add_u32 v90, v90, 4, 0
	s_delay_alu instid0(VALU_DEP_3)
	v_lshl_add_u32 v73, v73, 4, 0
	ds_store_b128 v78, v[12:15]
	ds_store_b128 v78, v[32:35] offset:256
	ds_store_b128 v78, v[36:39] offset:512
	ds_store_b128 v82, v[16:19]
	ds_store_b128 v82, v[40:43] offset:256
	ds_store_b128 v82, v[44:47] offset:512
	;; [unrolled: 3-line block ×5, first 2 shown]
	s_and_saveexec_b32 s1, s0
	s_cbranch_execz .LBB0_17
; %bb.16:
	v_lshlrev_b32_e32 v12, 5, v72
	s_delay_alu instid0(VALU_DEP_1)
	v_and_b32_e32 v16, 0x1e0, v12
	s_clause 0x1
	global_load_b128 v[12:15], v16, s[4:5]
	global_load_b128 v[16:19], v16, s[4:5] offset:16
	s_wait_loadcnt 0x1
	v_mul_f64_e32 v[20:21], v[4:5], v[14:15]
	s_wait_loadcnt 0x0
	v_mul_f64_e32 v[22:23], v[8:9], v[18:19]
	v_mul_f64_e32 v[14:15], v[6:7], v[14:15]
	;; [unrolled: 1-line block ×3, first 2 shown]
	s_delay_alu instid0(VALU_DEP_4) | instskip(NEXT) | instid1(VALU_DEP_4)
	v_fma_f64 v[6:7], v[6:7], v[12:13], -v[20:21]
	v_fma_f64 v[10:11], v[10:11], v[16:17], -v[22:23]
	s_delay_alu instid0(VALU_DEP_4) | instskip(NEXT) | instid1(VALU_DEP_4)
	v_fma_f64 v[4:5], v[4:5], v[12:13], v[14:15]
	v_fma_f64 v[8:9], v[8:9], v[16:17], v[18:19]
	s_delay_alu instid0(VALU_DEP_4) | instskip(NEXT) | instid1(VALU_DEP_4)
	v_add_f64_e32 v[18:19], v[2:3], v[6:7]
	v_add_f64_e32 v[12:13], v[6:7], v[10:11]
	v_add_f64_e64 v[20:21], v[6:7], -v[10:11]
	s_delay_alu instid0(VALU_DEP_4)
	v_add_f64_e32 v[14:15], v[4:5], v[8:9]
	v_add_f64_e64 v[16:17], v[4:5], -v[8:9]
	v_add_f64_e32 v[4:5], v[0:1], v[4:5]
	v_fma_f64 v[12:13], v[12:13], -0.5, v[2:3]
	v_add_f64_e32 v[2:3], v[18:19], v[10:11]
	v_fma_f64 v[14:15], v[14:15], -0.5, v[0:1]
	s_delay_alu instid0(VALU_DEP_4) | instskip(NEXT) | instid1(VALU_DEP_4)
	v_add_f64_e32 v[0:1], v[4:5], v[8:9]
	v_fma_f64 v[10:11], v[16:17], s[6:7], v[12:13]
	v_fma_f64 v[6:7], v[16:17], s[2:3], v[12:13]
	s_delay_alu instid0(VALU_DEP_4)
	v_fma_f64 v[8:9], v[20:21], s[2:3], v[14:15]
	v_fma_f64 v[4:5], v[20:21], s[6:7], v[14:15]
	ds_store_b128 v83, v[0:3] offset:11520
	ds_store_b128 v83, v[8:11] offset:11776
	;; [unrolled: 1-line block ×3, first 2 shown]
.LBB0_17:
	s_wait_alu 0xfffe
	s_or_b32 exec_lo, exec_lo, s1
	v_mul_u32_u24_e32 v0, 15, v72
	global_wb scope:SCOPE_SE
	s_wait_dscnt 0x0
	s_barrier_signal -1
	s_barrier_wait -1
	global_inv scope:SCOPE_SE
	v_lshlrev_b32_e32 v56, 4, v0
	s_mov_b32 s0, 0x667f3bcd
	s_mov_b32 s1, 0xbfe6a09e
	;; [unrolled: 1-line block ×3, first 2 shown]
	s_wait_alu 0xfffe
	s_mov_b32 s2, s0
	s_clause 0xe
	global_load_b128 v[0:3], v56, s[4:5] offset:512
	global_load_b128 v[4:7], v56, s[4:5] offset:528
	global_load_b128 v[8:11], v56, s[4:5] offset:544
	global_load_b128 v[12:15], v56, s[4:5] offset:560
	global_load_b128 v[16:19], v56, s[4:5] offset:576
	global_load_b128 v[20:23], v56, s[4:5] offset:592
	global_load_b128 v[24:27], v56, s[4:5] offset:608
	global_load_b128 v[28:31], v56, s[4:5] offset:624
	global_load_b128 v[32:35], v56, s[4:5] offset:688
	global_load_b128 v[36:39], v56, s[4:5] offset:640
	global_load_b128 v[40:43], v56, s[4:5] offset:656
	global_load_b128 v[44:47], v56, s[4:5] offset:720
	global_load_b128 v[48:51], v56, s[4:5] offset:704
	global_load_b128 v[52:55], v56, s[4:5] offset:672
	global_load_b128 v[56:59], v56, s[4:5] offset:736
	ds_load_b128 v[60:63], v88
	ds_load_b128 v[64:67], v87
	;; [unrolled: 1-line block ×5, first 2 shown]
	ds_load_b128 v[97:100], v83 offset:4608
	ds_load_b128 v[105:108], v83
	ds_load_b128 v[101:104], v83 offset:5376
	ds_load_b128 v[109:112], v83 offset:6144
	;; [unrolled: 1-line block ×4, first 2 shown]
	s_mov_b32 s10, 0xa6aea964
	s_mov_b32 s11, 0x3fd87de2
	s_mov_b32 s13, 0xbfd87de2
	s_wait_alu 0xfffe
	s_mov_b32 s12, s10
	s_mov_b32 s6, 0xcf328d46
	;; [unrolled: 1-line block ×4, first 2 shown]
	s_wait_alu 0xfffe
	s_mov_b32 s14, s6
	s_wait_loadcnt_dscnt 0xe0a
	v_mul_f64_e32 v[121:122], v[62:63], v[2:3]
	v_mul_f64_e32 v[2:3], v[60:61], v[2:3]
	s_wait_loadcnt_dscnt 0xd09
	v_mul_f64_e32 v[123:124], v[66:67], v[6:7]
	v_mul_f64_e32 v[6:7], v[64:65], v[6:7]
	;; [unrolled: 3-line block ×7, first 2 shown]
	v_fma_f64 v[121:122], v[60:61], v[0:1], v[121:122]
	v_fma_f64 v[135:136], v[62:63], v[0:1], -v[2:3]
	ds_load_b128 v[0:3], v83 offset:7680
	ds_load_b128 v[60:63], v83 offset:10752
	v_fma_f64 v[123:124], v[64:65], v[4:5], v[123:124]
	v_fma_f64 v[137:138], v[66:67], v[4:5], -v[6:7]
	ds_load_b128 v[4:7], v83 offset:9984
	ds_load_b128 v[64:67], v83 offset:8448
	v_fma_f64 v[68:69], v[68:69], v[8:9], v[125:126]
	v_fma_f64 v[70:71], v[70:71], v[8:9], -v[10:11]
	ds_load_b128 v[8:11], v83 offset:11520
	s_wait_loadcnt_dscnt 0x707
	v_mul_f64_e32 v[125:126], v[111:112], v[30:31]
	v_mul_f64_e32 v[30:31], v[109:110], v[30:31]
	v_fma_f64 v[89:90], v[89:90], v[12:13], v[127:128]
	v_fma_f64 v[12:13], v[91:92], v[12:13], -v[14:15]
	s_wait_loadcnt_dscnt 0x606
	v_mul_f64_e32 v[14:15], v[115:116], v[34:35]
	v_mul_f64_e32 v[34:35], v[113:114], v[34:35]
	s_wait_loadcnt_dscnt 0x505
	v_mul_f64_e32 v[91:92], v[119:120], v[38:39]
	v_mul_f64_e32 v[38:39], v[117:118], v[38:39]
	v_fma_f64 v[93:94], v[93:94], v[16:17], v[129:130]
	v_fma_f64 v[16:17], v[95:96], v[16:17], -v[18:19]
	v_fma_f64 v[97:98], v[97:98], v[20:21], v[131:132]
	v_fma_f64 v[20:21], v[99:100], v[20:21], -v[22:23]
	s_wait_loadcnt_dscnt 0x404
	v_mul_f64_e32 v[18:19], v[2:3], v[42:43]
	v_mul_f64_e32 v[42:43], v[0:1], v[42:43]
	s_wait_loadcnt_dscnt 0x303
	v_mul_f64_e32 v[95:96], v[62:63], v[46:47]
	v_mul_f64_e32 v[46:47], v[60:61], v[46:47]
	;; [unrolled: 3-line block ×4, first 2 shown]
	v_fma_f64 v[101:102], v[101:102], v[24:25], v[133:134]
	v_fma_f64 v[24:25], v[103:104], v[24:25], -v[26:27]
	s_wait_loadcnt_dscnt 0x0
	v_mul_f64_e32 v[26:27], v[8:9], v[58:59]
	v_mul_f64_e32 v[58:59], v[10:11], v[58:59]
	global_wb scope:SCOPE_SE
	s_barrier_signal -1
	s_barrier_wait -1
	global_inv scope:SCOPE_SE
	v_fma_f64 v[103:104], v[109:110], v[28:29], v[125:126]
	v_fma_f64 v[28:29], v[111:112], v[28:29], -v[30:31]
	v_fma_f64 v[14:15], v[113:114], v[32:33], v[14:15]
	v_fma_f64 v[30:31], v[115:116], v[32:33], -v[34:35]
	;; [unrolled: 2-line block ×7, first 2 shown]
	v_fma_f64 v[10:11], v[10:11], v[56:57], -v[26:27]
	v_fma_f64 v[8:9], v[8:9], v[56:57], v[58:59]
	v_add_f64_e64 v[26:27], v[105:106], -v[103:104]
	v_add_f64_e64 v[28:29], v[107:108], -v[28:29]
	;; [unrolled: 1-line block ×16, first 2 shown]
	v_fma_f64 v[56:57], v[105:106], 2.0, -v[26:27]
	v_fma_f64 v[58:59], v[107:108], 2.0, -v[28:29]
	v_add_f64_e64 v[42:43], v[28:29], -v[14:15]
	v_add_f64_e32 v[40:41], v[26:27], v[30:31]
	v_fma_f64 v[14:15], v[89:90], 2.0, -v[14:15]
	v_fma_f64 v[12:13], v[12:13], 2.0, -v[30:31]
	;; [unrolled: 1-line block ×5, first 2 shown]
	v_add_f64_e64 v[46:47], v[2:3], -v[18:19]
	v_add_f64_e32 v[44:45], v[0:1], v[32:33]
	v_add_f64_e64 v[50:51], v[36:37], -v[4:5]
	v_add_f64_e32 v[48:49], v[34:35], v[6:7]
	v_fma_f64 v[18:19], v[97:98], 2.0, -v[18:19]
	v_fma_f64 v[20:21], v[20:21], 2.0, -v[32:33]
	;; [unrolled: 1-line block ×4, first 2 shown]
	v_add_f64_e32 v[52:53], v[22:23], v[10:11]
	v_add_f64_e64 v[54:55], v[38:39], -v[8:9]
	v_fma_f64 v[6:7], v[16:17], 2.0, -v[6:7]
	v_fma_f64 v[16:17], v[68:69], 2.0, -v[22:23]
	;; [unrolled: 1-line block ×7, first 2 shown]
	v_add_f64_e64 v[14:15], v[56:57], -v[14:15]
	v_add_f64_e64 v[12:13], v[58:59], -v[12:13]
	v_fma_f64 v[2:3], v[2:3], 2.0, -v[46:47]
	v_fma_f64 v[0:1], v[0:1], 2.0, -v[44:45]
	v_fma_f64 v[66:67], v[46:47], s[2:3], v[42:43]
	v_fma_f64 v[28:29], v[34:35], 2.0, -v[48:49]
	v_fma_f64 v[34:35], v[36:37], 2.0, -v[50:51]
	v_add_f64_e64 v[18:19], v[30:31], -v[18:19]
	v_add_f64_e64 v[20:21], v[60:61], -v[20:21]
	;; [unrolled: 1-line block ×3, first 2 shown]
	v_fma_f64 v[22:23], v[22:23], 2.0, -v[52:53]
	v_fma_f64 v[36:37], v[38:39], 2.0, -v[54:55]
	v_add_f64_e64 v[6:7], v[62:63], -v[6:7]
	v_fma_f64 v[38:39], v[44:45], s[2:3], v[40:41]
	v_fma_f64 v[68:69], v[52:53], s[2:3], v[48:49]
	v_add_f64_e64 v[8:9], v[16:17], -v[8:9]
	v_add_f64_e64 v[10:11], v[64:65], -v[10:11]
	v_fma_f64 v[70:71], v[54:55], s[2:3], v[50:51]
	v_fma_f64 v[56:57], v[56:57], 2.0, -v[14:15]
	v_fma_f64 v[58:59], v[58:59], 2.0, -v[12:13]
	v_fma_f64 v[91:92], v[2:3], s[0:1], v[26:27]
	v_fma_f64 v[89:90], v[0:1], s[0:1], v[24:25]
	;; [unrolled: 1-line block ×3, first 2 shown]
	v_fma_f64 v[30:31], v[30:31], 2.0, -v[18:19]
	v_fma_f64 v[60:61], v[60:61], 2.0, -v[20:21]
	v_add_f64_e32 v[97:98], v[14:15], v[20:21]
	v_fma_f64 v[93:94], v[22:23], s[0:1], v[28:29]
	v_fma_f64 v[95:96], v[36:37], s[0:1], v[34:35]
	v_add_f64_e64 v[99:100], v[12:13], -v[18:19]
	v_fma_f64 v[32:33], v[32:33], 2.0, -v[4:5]
	v_fma_f64 v[62:63], v[62:63], 2.0, -v[6:7]
	;; [unrolled: 1-line block ×4, first 2 shown]
	v_add_f64_e32 v[10:11], v[4:5], v[10:11]
	v_add_f64_e64 v[8:9], v[6:7], -v[8:9]
	v_fma_f64 v[101:102], v[46:47], s[2:3], v[38:39]
	v_fma_f64 v[38:39], v[54:55], s[2:3], v[68:69]
	;; [unrolled: 1-line block ×5, first 2 shown]
	v_fma_f64 v[91:92], v[42:43], 2.0, -v[66:67]
	v_add_f64_e64 v[52:53], v[56:57], -v[30:31]
	v_add_f64_e64 v[54:55], v[58:59], -v[60:61]
	v_fma_f64 v[60:61], v[14:15], 2.0, -v[97:98]
	v_fma_f64 v[36:37], v[36:37], s[2:3], v[93:94]
	v_fma_f64 v[46:47], v[22:23], s[0:1], v[95:96]
	v_fma_f64 v[70:71], v[12:13], 2.0, -v[99:100]
	v_add_f64_e64 v[2:3], v[32:33], -v[16:17]
	v_add_f64_e64 v[0:1], v[62:63], -v[18:19]
	v_fma_f64 v[14:15], v[4:5], 2.0, -v[10:11]
	v_fma_f64 v[12:13], v[6:7], 2.0, -v[8:9]
	;; [unrolled: 1-line block ×5, first 2 shown]
	v_fma_f64 v[4:5], v[10:11], s[2:3], v[97:98]
	v_fma_f64 v[6:7], v[8:9], s[2:3], v[99:100]
	s_wait_alu 0xfffe
	v_fma_f64 v[103:104], v[44:45], s[14:15], v[66:67]
	v_fma_f64 v[95:96], v[26:27], 2.0, -v[68:69]
	v_fma_f64 v[93:94], v[24:25], 2.0, -v[64:65]
	;; [unrolled: 1-line block ×6, first 2 shown]
	v_fma_f64 v[56:57], v[36:37], s[10:11], v[64:65]
	v_fma_f64 v[58:59], v[46:47], s[10:11], v[68:69]
	v_fma_f64 v[24:25], v[32:33], 2.0, -v[2:3]
	v_fma_f64 v[26:27], v[62:63], 2.0, -v[0:1]
	v_fma_f64 v[28:29], v[14:15], s[0:1], v[60:61]
	v_fma_f64 v[30:31], v[12:13], s[0:1], v[70:71]
	;; [unrolled: 1-line block ×7, first 2 shown]
	v_add_f64_e32 v[0:1], v[52:53], v[0:1]
	v_add_f64_e64 v[2:3], v[54:55], -v[2:3]
	v_fma_f64 v[48:49], v[22:23], s[6:7], v[93:94]
	v_fma_f64 v[50:51], v[20:21], s[6:7], v[95:96]
	v_add_f64_e64 v[8:9], v[40:41], -v[24:25]
	v_add_f64_e64 v[10:11], v[42:43], -v[26:27]
	v_fma_f64 v[12:13], v[12:13], s[2:3], v[28:29]
	v_fma_f64 v[14:15], v[14:15], s[0:1], v[30:31]
	;; [unrolled: 1-line block ×8, first 2 shown]
	v_fma_f64 v[32:33], v[52:53], 2.0, -v[0:1]
	v_fma_f64 v[34:35], v[54:55], 2.0, -v[2:3]
	;; [unrolled: 1-line block ×4, first 2 shown]
	s_mov_b32 s1, exec_lo
	v_fma_f64 v[20:21], v[20:21], s[10:11], v[48:49]
	v_fma_f64 v[22:23], v[22:23], s[12:13], v[50:51]
	v_fma_f64 v[40:41], v[40:41], 2.0, -v[8:9]
	v_fma_f64 v[42:43], v[42:43], 2.0, -v[10:11]
	;; [unrolled: 1-line block ×12, first 2 shown]
	ds_store_b128 v83, v[44:47] offset:1536
	ds_store_b128 v83, v[48:51] offset:2304
	ds_store_b128 v83, v[40:43]
	ds_store_b128 v83, v[52:55] offset:768
	ds_store_b128 v85, v[32:35]
	ds_store_b128 v83, v[56:59] offset:3840
	ds_store_b128 v83, v[36:39] offset:4608
	;; [unrolled: 1-line block ×11, first 2 shown]
	global_wb scope:SCOPE_SE
	s_wait_dscnt 0x0
	s_barrier_signal -1
	s_barrier_wait -1
	global_inv scope:SCOPE_SE
	ds_load_b128 v[4:7], v83
	v_lshlrev_b32_e32 v0, 4, v72
                                        ; implicit-def: $vgpr10_vgpr11
                                        ; implicit-def: $vgpr12_vgpr13
                                        ; implicit-def: $vgpr8_vgpr9
	s_delay_alu instid0(VALU_DEP_1)
	v_sub_nc_u32_e32 v14, 0, v0
                                        ; implicit-def: $vgpr0_vgpr1
	v_cmpx_ne_u32_e32 0, v72
	s_wait_alu 0xfffe
	s_xor_b32 s1, exec_lo, s1
	s_cbranch_execz .LBB0_19
; %bb.18:
	v_mov_b32_e32 v73, 0
	s_delay_alu instid0(VALU_DEP_1) | instskip(NEXT) | instid1(VALU_DEP_1)
	v_lshlrev_b64_e32 v[0:1], 4, v[72:73]
	v_add_co_u32 v0, s0, s4, v0
	s_wait_alu 0xf1ff
	s_delay_alu instid0(VALU_DEP_2)
	v_add_co_ci_u32_e64 v1, s0, s5, v1, s0
	global_load_b128 v[8:11], v[0:1], off offset:12032
	ds_load_b128 v[0:3], v14 offset:12288
	s_wait_dscnt 0x0
	v_add_f64_e64 v[12:13], v[4:5], -v[0:1]
	v_add_f64_e32 v[15:16], v[6:7], v[2:3]
	v_add_f64_e64 v[2:3], v[6:7], -v[2:3]
	v_add_f64_e32 v[0:1], v[4:5], v[0:1]
	s_delay_alu instid0(VALU_DEP_4) | instskip(NEXT) | instid1(VALU_DEP_4)
	v_mul_f64_e32 v[6:7], 0.5, v[12:13]
	v_mul_f64_e32 v[4:5], 0.5, v[15:16]
	s_delay_alu instid0(VALU_DEP_4) | instskip(SKIP_1) | instid1(VALU_DEP_3)
	v_mul_f64_e32 v[2:3], 0.5, v[2:3]
	s_wait_loadcnt 0x0
	v_mul_f64_e32 v[12:13], v[6:7], v[10:11]
	s_delay_alu instid0(VALU_DEP_2) | instskip(SKIP_1) | instid1(VALU_DEP_3)
	v_fma_f64 v[15:16], v[4:5], v[10:11], v[2:3]
	v_fma_f64 v[2:3], v[4:5], v[10:11], -v[2:3]
	v_fma_f64 v[17:18], v[0:1], 0.5, v[12:13]
	v_fma_f64 v[0:1], v[0:1], 0.5, -v[12:13]
	s_delay_alu instid0(VALU_DEP_4) | instskip(NEXT) | instid1(VALU_DEP_4)
	v_fma_f64 v[12:13], -v[8:9], v[6:7], v[15:16]
	v_fma_f64 v[2:3], -v[8:9], v[6:7], v[2:3]
	s_delay_alu instid0(VALU_DEP_4) | instskip(NEXT) | instid1(VALU_DEP_4)
	v_fma_f64 v[10:11], v[4:5], v[8:9], v[17:18]
	v_fma_f64 v[0:1], -v[4:5], v[8:9], v[0:1]
	v_dual_mov_b32 v8, v72 :: v_dual_mov_b32 v9, v73
                                        ; implicit-def: $vgpr4_vgpr5
.LBB0_19:
	s_wait_alu 0xfffe
	s_and_not1_saveexec_b32 s0, s1
	s_cbranch_execz .LBB0_21
; %bb.20:
	s_wait_dscnt 0x0
	v_add_f64_e32 v[10:11], v[4:5], v[6:7]
	v_add_f64_e64 v[0:1], v[4:5], -v[6:7]
	v_mov_b32_e32 v6, 0
	v_mov_b32_e32 v12, 0
	v_dual_mov_b32 v13, 0 :: v_dual_mov_b32 v8, 0
	s_delay_alu instid0(VALU_DEP_2)
	v_mov_b32_e32 v2, v12
	ds_load_b64 v[4:5], v6 offset:6152
	v_mov_b32_e32 v9, 0
	v_mov_b32_e32 v3, v13
	s_wait_dscnt 0x0
	v_xor_b32_e32 v5, 0x80000000, v5
	ds_store_b64 v6, v[4:5] offset:6152
.LBB0_21:
	s_wait_alu 0xfffe
	s_or_b32 exec_lo, exec_lo, s0
	v_mov_b32_e32 v78, 0
	s_wait_dscnt 0x0
	s_delay_alu instid0(VALU_DEP_1) | instskip(SKIP_1) | instid1(VALU_DEP_2)
	v_lshlrev_b64_e32 v[4:5], 4, v[77:78]
	v_dual_mov_b32 v82, v78 :: v_dual_mov_b32 v77, v78
	v_add_co_u32 v4, s0, s4, v4
	s_wait_alu 0xf1ff
	s_delay_alu instid0(VALU_DEP_3) | instskip(NEXT) | instid1(VALU_DEP_3)
	v_add_co_ci_u32_e64 v5, s0, s5, v5, s0
	v_lshlrev_b64_e32 v[15:16], 4, v[81:82]
	v_mov_b32_e32 v81, v78
	global_load_b128 v[4:7], v[4:5], off offset:12032
	v_add_co_u32 v15, s0, s4, v15
	s_wait_alu 0xf1ff
	v_add_co_ci_u32_e64 v16, s0, s5, v16, s0
	global_load_b128 v[15:18], v[15:16], off offset:12032
	ds_store_2addr_b64 v83, v[10:11], v[12:13] offset1:1
	ds_store_b128 v14, v[0:3] offset:12288
	ds_load_b128 v[0:3], v88
	ds_load_b128 v[10:13], v14 offset:11520
	s_wait_dscnt 0x0
	v_add_f64_e64 v[19:20], v[0:1], -v[10:11]
	v_add_f64_e32 v[21:22], v[2:3], v[12:13]
	v_add_f64_e64 v[2:3], v[2:3], -v[12:13]
	v_add_f64_e32 v[0:1], v[0:1], v[10:11]
	s_delay_alu instid0(VALU_DEP_4) | instskip(NEXT) | instid1(VALU_DEP_4)
	v_mul_f64_e32 v[12:13], 0.5, v[19:20]
	v_mul_f64_e32 v[19:20], 0.5, v[21:22]
	s_delay_alu instid0(VALU_DEP_4) | instskip(SKIP_1) | instid1(VALU_DEP_3)
	v_mul_f64_e32 v[2:3], 0.5, v[2:3]
	s_wait_loadcnt 0x1
	v_mul_f64_e32 v[10:11], v[12:13], v[6:7]
	s_delay_alu instid0(VALU_DEP_2) | instskip(SKIP_1) | instid1(VALU_DEP_3)
	v_fma_f64 v[21:22], v[19:20], v[6:7], v[2:3]
	v_fma_f64 v[2:3], v[19:20], v[6:7], -v[2:3]
	v_fma_f64 v[6:7], v[0:1], 0.5, v[10:11]
	v_fma_f64 v[0:1], v[0:1], 0.5, -v[10:11]
	s_delay_alu instid0(VALU_DEP_4) | instskip(NEXT) | instid1(VALU_DEP_4)
	v_fma_f64 v[10:11], -v[4:5], v[12:13], v[21:22]
	v_fma_f64 v[2:3], -v[4:5], v[12:13], v[2:3]
	s_delay_alu instid0(VALU_DEP_4) | instskip(NEXT) | instid1(VALU_DEP_4)
	v_fma_f64 v[12:13], v[19:20], v[4:5], v[6:7]
	v_fma_f64 v[0:1], -v[19:20], v[4:5], v[0:1]
	v_lshlrev_b64_e32 v[4:5], 4, v[80:81]
	v_mov_b32_e32 v80, v78
	s_delay_alu instid0(VALU_DEP_2) | instskip(SKIP_1) | instid1(VALU_DEP_3)
	v_add_co_u32 v4, s0, s4, v4
	s_wait_alu 0xf1ff
	v_add_co_ci_u32_e64 v5, s0, s5, v5, s0
	global_load_b128 v[4:7], v[4:5], off offset:12032
	ds_store_2addr_b64 v88, v[12:13], v[10:11] offset1:1
	ds_store_b128 v14, v[0:3] offset:11520
	ds_load_b128 v[0:3], v87
	ds_load_b128 v[10:13], v14 offset:10752
	s_wait_dscnt 0x0
	v_add_f64_e64 v[19:20], v[0:1], -v[10:11]
	v_add_f64_e32 v[21:22], v[2:3], v[12:13]
	v_add_f64_e64 v[2:3], v[2:3], -v[12:13]
	v_add_f64_e32 v[0:1], v[0:1], v[10:11]
	s_delay_alu instid0(VALU_DEP_4) | instskip(NEXT) | instid1(VALU_DEP_4)
	v_mul_f64_e32 v[12:13], 0.5, v[19:20]
	v_mul_f64_e32 v[19:20], 0.5, v[21:22]
	s_delay_alu instid0(VALU_DEP_4) | instskip(SKIP_1) | instid1(VALU_DEP_3)
	v_mul_f64_e32 v[2:3], 0.5, v[2:3]
	s_wait_loadcnt 0x1
	v_mul_f64_e32 v[10:11], v[12:13], v[17:18]
	s_delay_alu instid0(VALU_DEP_2) | instskip(SKIP_1) | instid1(VALU_DEP_3)
	v_fma_f64 v[21:22], v[19:20], v[17:18], v[2:3]
	v_fma_f64 v[2:3], v[19:20], v[17:18], -v[2:3]
	v_fma_f64 v[17:18], v[0:1], 0.5, v[10:11]
	v_fma_f64 v[0:1], v[0:1], 0.5, -v[10:11]
	s_delay_alu instid0(VALU_DEP_4) | instskip(NEXT) | instid1(VALU_DEP_4)
	v_fma_f64 v[21:22], -v[15:16], v[12:13], v[21:22]
	v_fma_f64 v[2:3], -v[15:16], v[12:13], v[2:3]
	v_lshlrev_b64_e32 v[10:11], 4, v[79:80]
	s_delay_alu instid0(VALU_DEP_1) | instskip(SKIP_1) | instid1(VALU_DEP_2)
	v_add_co_u32 v10, s0, s4, v10
	s_wait_alu 0xf1ff
	v_add_co_ci_u32_e64 v11, s0, s5, v11, s0
	global_load_b128 v[10:13], v[10:11], off offset:12032
	v_fma_f64 v[17:18], v[19:20], v[15:16], v[17:18]
	v_fma_f64 v[0:1], -v[19:20], v[15:16], v[0:1]
	ds_store_2addr_b64 v87, v[17:18], v[21:22] offset1:1
	ds_store_b128 v14, v[0:3] offset:10752
	ds_load_b128 v[0:3], v86
	ds_load_b128 v[15:18], v14 offset:9984
	s_wait_dscnt 0x0
	v_add_f64_e64 v[19:20], v[0:1], -v[15:16]
	v_add_f64_e32 v[21:22], v[2:3], v[17:18]
	v_add_f64_e64 v[2:3], v[2:3], -v[17:18]
	v_add_f64_e32 v[0:1], v[0:1], v[15:16]
	s_delay_alu instid0(VALU_DEP_4) | instskip(NEXT) | instid1(VALU_DEP_4)
	v_mul_f64_e32 v[17:18], 0.5, v[19:20]
	v_mul_f64_e32 v[19:20], 0.5, v[21:22]
	s_delay_alu instid0(VALU_DEP_4) | instskip(SKIP_1) | instid1(VALU_DEP_3)
	v_mul_f64_e32 v[2:3], 0.5, v[2:3]
	s_wait_loadcnt 0x1
	v_mul_f64_e32 v[15:16], v[17:18], v[6:7]
	s_delay_alu instid0(VALU_DEP_2) | instskip(SKIP_1) | instid1(VALU_DEP_3)
	v_fma_f64 v[21:22], v[19:20], v[6:7], v[2:3]
	v_fma_f64 v[2:3], v[19:20], v[6:7], -v[2:3]
	v_fma_f64 v[6:7], v[0:1], 0.5, v[15:16]
	v_fma_f64 v[0:1], v[0:1], 0.5, -v[15:16]
	s_delay_alu instid0(VALU_DEP_4) | instskip(NEXT) | instid1(VALU_DEP_4)
	v_fma_f64 v[15:16], -v[4:5], v[17:18], v[21:22]
	v_fma_f64 v[2:3], -v[4:5], v[17:18], v[2:3]
	s_delay_alu instid0(VALU_DEP_4) | instskip(NEXT) | instid1(VALU_DEP_4)
	v_fma_f64 v[17:18], v[19:20], v[4:5], v[6:7]
	v_fma_f64 v[0:1], -v[19:20], v[4:5], v[0:1]
	v_lshlrev_b64_e32 v[4:5], 4, v[76:77]
	s_delay_alu instid0(VALU_DEP_1) | instskip(SKIP_1) | instid1(VALU_DEP_2)
	v_add_co_u32 v4, s0, s4, v4
	s_wait_alu 0xf1ff
	v_add_co_ci_u32_e64 v5, s0, s5, v5, s0
	s_add_nc_u64 s[0:1], s[4:5], 0x2f00
	global_load_b128 v[4:7], v[4:5], off offset:12032
	ds_store_2addr_b64 v86, v[17:18], v[15:16] offset1:1
	ds_store_b128 v14, v[0:3] offset:9984
	ds_load_b128 v[0:3], v85
	ds_load_b128 v[15:18], v14 offset:9216
	s_wait_dscnt 0x0
	v_add_f64_e64 v[19:20], v[0:1], -v[15:16]
	v_add_f64_e32 v[21:22], v[2:3], v[17:18]
	v_add_f64_e64 v[2:3], v[2:3], -v[17:18]
	v_add_f64_e32 v[0:1], v[0:1], v[15:16]
	s_delay_alu instid0(VALU_DEP_4) | instskip(NEXT) | instid1(VALU_DEP_4)
	v_mul_f64_e32 v[17:18], 0.5, v[19:20]
	v_mul_f64_e32 v[19:20], 0.5, v[21:22]
	s_delay_alu instid0(VALU_DEP_4) | instskip(SKIP_1) | instid1(VALU_DEP_3)
	v_mul_f64_e32 v[2:3], 0.5, v[2:3]
	s_wait_loadcnt 0x1
	v_mul_f64_e32 v[15:16], v[17:18], v[12:13]
	s_delay_alu instid0(VALU_DEP_2) | instskip(SKIP_1) | instid1(VALU_DEP_3)
	v_fma_f64 v[21:22], v[19:20], v[12:13], v[2:3]
	v_fma_f64 v[2:3], v[19:20], v[12:13], -v[2:3]
	v_fma_f64 v[23:24], v[0:1], 0.5, v[15:16]
	v_fma_f64 v[0:1], v[0:1], 0.5, -v[15:16]
	s_delay_alu instid0(VALU_DEP_4) | instskip(NEXT) | instid1(VALU_DEP_4)
	v_fma_f64 v[21:22], -v[10:11], v[17:18], v[21:22]
	v_fma_f64 v[12:13], -v[10:11], v[17:18], v[2:3]
	s_delay_alu instid0(VALU_DEP_4) | instskip(NEXT) | instid1(VALU_DEP_4)
	v_fma_f64 v[2:3], v[19:20], v[10:11], v[23:24]
	v_fma_f64 v[10:11], -v[19:20], v[10:11], v[0:1]
	v_lshlrev_b64_e32 v[0:1], 4, v[8:9]
	s_wait_alu 0xfffe
	s_delay_alu instid0(VALU_DEP_1) | instskip(SKIP_1) | instid1(VALU_DEP_2)
	v_add_co_u32 v23, s0, s0, v0
	s_wait_alu 0xf1ff
	v_add_co_ci_u32_e64 v24, s0, s1, v1, s0
	global_load_b128 v[15:18], v[23:24], off offset:4608
	ds_store_2addr_b64 v85, v[2:3], v[21:22] offset1:1
	ds_store_b128 v14, v[10:13] offset:9216
	ds_load_b128 v[8:11], v84
	ds_load_b128 v[19:22], v14 offset:8448
	s_wait_dscnt 0x0
	v_add_f64_e64 v[2:3], v[8:9], -v[19:20]
	v_add_f64_e32 v[12:13], v[10:11], v[21:22]
	v_add_f64_e64 v[10:11], v[10:11], -v[21:22]
	v_add_f64_e32 v[8:9], v[8:9], v[19:20]
	s_delay_alu instid0(VALU_DEP_4) | instskip(NEXT) | instid1(VALU_DEP_4)
	v_mul_f64_e32 v[2:3], 0.5, v[2:3]
	v_mul_f64_e32 v[12:13], 0.5, v[12:13]
	s_delay_alu instid0(VALU_DEP_4) | instskip(SKIP_1) | instid1(VALU_DEP_3)
	v_mul_f64_e32 v[10:11], 0.5, v[10:11]
	s_wait_loadcnt 0x1
	v_mul_f64_e32 v[19:20], v[2:3], v[6:7]
	s_delay_alu instid0(VALU_DEP_2) | instskip(SKIP_1) | instid1(VALU_DEP_3)
	v_fma_f64 v[21:22], v[12:13], v[6:7], v[10:11]
	v_fma_f64 v[6:7], v[12:13], v[6:7], -v[10:11]
	v_fma_f64 v[10:11], v[8:9], 0.5, v[19:20]
	v_fma_f64 v[8:9], v[8:9], 0.5, -v[19:20]
	s_delay_alu instid0(VALU_DEP_4) | instskip(NEXT) | instid1(VALU_DEP_4)
	v_fma_f64 v[19:20], -v[4:5], v[2:3], v[21:22]
	v_fma_f64 v[6:7], -v[4:5], v[2:3], v[6:7]
	s_delay_alu instid0(VALU_DEP_4) | instskip(NEXT) | instid1(VALU_DEP_4)
	v_fma_f64 v[2:3], v[12:13], v[4:5], v[10:11]
	v_fma_f64 v[4:5], -v[12:13], v[4:5], v[8:9]
	global_load_b128 v[8:11], v[23:24], off offset:5376
	ds_store_2addr_b64 v84, v[2:3], v[19:20] offset1:1
	ds_store_b128 v14, v[4:7] offset:8448
	ds_load_b128 v[2:5], v83 offset:4608
	ds_load_b128 v[19:22], v14 offset:7680
	s_wait_dscnt 0x0
	v_add_f64_e64 v[6:7], v[2:3], -v[19:20]
	v_add_f64_e32 v[12:13], v[4:5], v[21:22]
	v_add_f64_e64 v[4:5], v[4:5], -v[21:22]
	v_add_f64_e32 v[2:3], v[2:3], v[19:20]
	s_delay_alu instid0(VALU_DEP_4) | instskip(NEXT) | instid1(VALU_DEP_4)
	v_mul_f64_e32 v[6:7], 0.5, v[6:7]
	v_mul_f64_e32 v[12:13], 0.5, v[12:13]
	s_delay_alu instid0(VALU_DEP_4) | instskip(SKIP_1) | instid1(VALU_DEP_3)
	v_mul_f64_e32 v[4:5], 0.5, v[4:5]
	s_wait_loadcnt 0x1
	v_mul_f64_e32 v[19:20], v[6:7], v[17:18]
	s_delay_alu instid0(VALU_DEP_2) | instskip(SKIP_1) | instid1(VALU_DEP_3)
	v_fma_f64 v[21:22], v[12:13], v[17:18], v[4:5]
	v_fma_f64 v[4:5], v[12:13], v[17:18], -v[4:5]
	v_fma_f64 v[17:18], v[2:3], 0.5, v[19:20]
	v_fma_f64 v[2:3], v[2:3], 0.5, -v[19:20]
	s_delay_alu instid0(VALU_DEP_4) | instskip(NEXT) | instid1(VALU_DEP_4)
	v_fma_f64 v[19:20], -v[15:16], v[6:7], v[21:22]
	v_fma_f64 v[4:5], -v[15:16], v[6:7], v[4:5]
	v_add_nc_u32_e32 v21, 0x1000, v83
	v_fma_f64 v[6:7], v[12:13], v[15:16], v[17:18]
	v_fma_f64 v[2:3], -v[12:13], v[15:16], v[2:3]
	ds_store_2addr_b64 v21, v[6:7], v[19:20] offset0:64 offset1:65
	ds_store_b128 v14, v[2:5] offset:7680
	ds_load_b128 v[2:5], v83 offset:5376
	ds_load_b128 v[15:18], v14 offset:6912
	s_wait_dscnt 0x0
	v_add_f64_e64 v[6:7], v[2:3], -v[15:16]
	v_add_f64_e32 v[12:13], v[4:5], v[17:18]
	v_add_f64_e64 v[4:5], v[4:5], -v[17:18]
	v_add_f64_e32 v[2:3], v[2:3], v[15:16]
	s_delay_alu instid0(VALU_DEP_4) | instskip(NEXT) | instid1(VALU_DEP_4)
	v_mul_f64_e32 v[6:7], 0.5, v[6:7]
	v_mul_f64_e32 v[12:13], 0.5, v[12:13]
	s_delay_alu instid0(VALU_DEP_4) | instskip(SKIP_1) | instid1(VALU_DEP_3)
	v_mul_f64_e32 v[4:5], 0.5, v[4:5]
	s_wait_loadcnt 0x0
	v_mul_f64_e32 v[15:16], v[6:7], v[10:11]
	s_delay_alu instid0(VALU_DEP_2) | instskip(SKIP_1) | instid1(VALU_DEP_3)
	v_fma_f64 v[17:18], v[12:13], v[10:11], v[4:5]
	v_fma_f64 v[4:5], v[12:13], v[10:11], -v[4:5]
	v_fma_f64 v[10:11], v[2:3], 0.5, v[15:16]
	v_fma_f64 v[2:3], v[2:3], 0.5, -v[15:16]
	s_delay_alu instid0(VALU_DEP_4) | instskip(NEXT) | instid1(VALU_DEP_4)
	v_fma_f64 v[15:16], -v[8:9], v[6:7], v[17:18]
	v_fma_f64 v[4:5], -v[8:9], v[6:7], v[4:5]
	s_delay_alu instid0(VALU_DEP_4) | instskip(NEXT) | instid1(VALU_DEP_4)
	v_fma_f64 v[6:7], v[12:13], v[8:9], v[10:11]
	v_fma_f64 v[2:3], -v[12:13], v[8:9], v[2:3]
	ds_store_2addr_b64 v21, v[6:7], v[15:16] offset0:160 offset1:161
	ds_store_b128 v14, v[2:5] offset:6912
	global_wb scope:SCOPE_SE
	s_wait_dscnt 0x0
	s_barrier_signal -1
	s_barrier_wait -1
	global_inv scope:SCOPE_SE
	s_and_saveexec_b32 s0, vcc_lo
	s_cbranch_execz .LBB0_24
; %bb.22:
	ds_load_b128 v[4:7], v83
	ds_load_b128 v[8:11], v83 offset:768
	ds_load_b128 v[12:15], v83 offset:1536
	;; [unrolled: 1-line block ×15, first 2 shown]
	v_add_co_u32 v2, vcc_lo, s8, v74
	s_wait_alu 0xfffd
	v_add_co_ci_u32_e32 v3, vcc_lo, s9, v75, vcc_lo
	s_delay_alu instid0(VALU_DEP_2) | instskip(SKIP_1) | instid1(VALU_DEP_2)
	v_add_co_u32 v0, vcc_lo, v2, v0
	s_wait_alu 0xfffd
	v_add_co_ci_u32_e32 v1, vcc_lo, v3, v1, vcc_lo
	v_cmp_eq_u32_e32 vcc_lo, 47, v72
	s_wait_dscnt 0xf
	global_store_b128 v[0:1], v[4:7], off
	s_wait_dscnt 0xe
	global_store_b128 v[0:1], v[8:11], off offset:768
	s_wait_dscnt 0xd
	global_store_b128 v[0:1], v[12:15], off offset:1536
	;; [unrolled: 2-line block ×15, first 2 shown]
	s_and_b32 exec_lo, exec_lo, vcc_lo
	s_cbranch_execz .LBB0_24
; %bb.23:
	v_mov_b32_e32 v0, 0
	ds_load_b128 v[4:7], v0 offset:12288
	s_wait_dscnt 0x0
	global_store_b128 v[2:3], v[4:7], off offset:12288
.LBB0_24:
	s_nop 0
	s_sendmsg sendmsg(MSG_DEALLOC_VGPRS)
	s_endpgm
	.section	.rodata,"a",@progbits
	.p2align	6, 0x0
	.amdhsa_kernel fft_rtc_back_len768_factors_16_3_16_wgs_48_tpt_48_halfLds_dp_ip_CI_unitstride_sbrr_R2C_dirReg
		.amdhsa_group_segment_fixed_size 0
		.amdhsa_private_segment_fixed_size 0
		.amdhsa_kernarg_size 88
		.amdhsa_user_sgpr_count 2
		.amdhsa_user_sgpr_dispatch_ptr 0
		.amdhsa_user_sgpr_queue_ptr 0
		.amdhsa_user_sgpr_kernarg_segment_ptr 1
		.amdhsa_user_sgpr_dispatch_id 0
		.amdhsa_user_sgpr_private_segment_size 0
		.amdhsa_wavefront_size32 1
		.amdhsa_uses_dynamic_stack 0
		.amdhsa_enable_private_segment 0
		.amdhsa_system_sgpr_workgroup_id_x 1
		.amdhsa_system_sgpr_workgroup_id_y 0
		.amdhsa_system_sgpr_workgroup_id_z 0
		.amdhsa_system_sgpr_workgroup_info 0
		.amdhsa_system_vgpr_workitem_id 0
		.amdhsa_next_free_vgpr 139
		.amdhsa_next_free_sgpr 32
		.amdhsa_reserve_vcc 1
		.amdhsa_float_round_mode_32 0
		.amdhsa_float_round_mode_16_64 0
		.amdhsa_float_denorm_mode_32 3
		.amdhsa_float_denorm_mode_16_64 3
		.amdhsa_fp16_overflow 0
		.amdhsa_workgroup_processor_mode 1
		.amdhsa_memory_ordered 1
		.amdhsa_forward_progress 0
		.amdhsa_round_robin_scheduling 0
		.amdhsa_exception_fp_ieee_invalid_op 0
		.amdhsa_exception_fp_denorm_src 0
		.amdhsa_exception_fp_ieee_div_zero 0
		.amdhsa_exception_fp_ieee_overflow 0
		.amdhsa_exception_fp_ieee_underflow 0
		.amdhsa_exception_fp_ieee_inexact 0
		.amdhsa_exception_int_div_zero 0
	.end_amdhsa_kernel
	.text
.Lfunc_end0:
	.size	fft_rtc_back_len768_factors_16_3_16_wgs_48_tpt_48_halfLds_dp_ip_CI_unitstride_sbrr_R2C_dirReg, .Lfunc_end0-fft_rtc_back_len768_factors_16_3_16_wgs_48_tpt_48_halfLds_dp_ip_CI_unitstride_sbrr_R2C_dirReg
                                        ; -- End function
	.section	.AMDGPU.csdata,"",@progbits
; Kernel info:
; codeLenInByte = 9544
; NumSgprs: 34
; NumVgprs: 139
; ScratchSize: 0
; MemoryBound: 0
; FloatMode: 240
; IeeeMode: 1
; LDSByteSize: 0 bytes/workgroup (compile time only)
; SGPRBlocks: 4
; VGPRBlocks: 17
; NumSGPRsForWavesPerEU: 34
; NumVGPRsForWavesPerEU: 139
; Occupancy: 10
; WaveLimiterHint : 1
; COMPUTE_PGM_RSRC2:SCRATCH_EN: 0
; COMPUTE_PGM_RSRC2:USER_SGPR: 2
; COMPUTE_PGM_RSRC2:TRAP_HANDLER: 0
; COMPUTE_PGM_RSRC2:TGID_X_EN: 1
; COMPUTE_PGM_RSRC2:TGID_Y_EN: 0
; COMPUTE_PGM_RSRC2:TGID_Z_EN: 0
; COMPUTE_PGM_RSRC2:TIDIG_COMP_CNT: 0
	.text
	.p2alignl 7, 3214868480
	.fill 96, 4, 3214868480
	.type	__hip_cuid_b9e09ac67bc73979,@object ; @__hip_cuid_b9e09ac67bc73979
	.section	.bss,"aw",@nobits
	.globl	__hip_cuid_b9e09ac67bc73979
__hip_cuid_b9e09ac67bc73979:
	.byte	0                               ; 0x0
	.size	__hip_cuid_b9e09ac67bc73979, 1

	.ident	"AMD clang version 19.0.0git (https://github.com/RadeonOpenCompute/llvm-project roc-6.4.0 25133 c7fe45cf4b819c5991fe208aaa96edf142730f1d)"
	.section	".note.GNU-stack","",@progbits
	.addrsig
	.addrsig_sym __hip_cuid_b9e09ac67bc73979
	.amdgpu_metadata
---
amdhsa.kernels:
  - .args:
      - .actual_access:  read_only
        .address_space:  global
        .offset:         0
        .size:           8
        .value_kind:     global_buffer
      - .offset:         8
        .size:           8
        .value_kind:     by_value
      - .actual_access:  read_only
        .address_space:  global
        .offset:         16
        .size:           8
        .value_kind:     global_buffer
      - .actual_access:  read_only
        .address_space:  global
        .offset:         24
        .size:           8
        .value_kind:     global_buffer
      - .offset:         32
        .size:           8
        .value_kind:     by_value
      - .actual_access:  read_only
        .address_space:  global
        .offset:         40
        .size:           8
        .value_kind:     global_buffer
      - .actual_access:  read_only
        .address_space:  global
        .offset:         48
        .size:           8
        .value_kind:     global_buffer
      - .offset:         56
        .size:           4
        .value_kind:     by_value
      - .actual_access:  read_only
        .address_space:  global
        .offset:         64
        .size:           8
        .value_kind:     global_buffer
      - .actual_access:  read_only
        .address_space:  global
        .offset:         72
        .size:           8
        .value_kind:     global_buffer
      - .address_space:  global
        .offset:         80
        .size:           8
        .value_kind:     global_buffer
    .group_segment_fixed_size: 0
    .kernarg_segment_align: 8
    .kernarg_segment_size: 88
    .language:       OpenCL C
    .language_version:
      - 2
      - 0
    .max_flat_workgroup_size: 48
    .name:           fft_rtc_back_len768_factors_16_3_16_wgs_48_tpt_48_halfLds_dp_ip_CI_unitstride_sbrr_R2C_dirReg
    .private_segment_fixed_size: 0
    .sgpr_count:     34
    .sgpr_spill_count: 0
    .symbol:         fft_rtc_back_len768_factors_16_3_16_wgs_48_tpt_48_halfLds_dp_ip_CI_unitstride_sbrr_R2C_dirReg.kd
    .uniform_work_group_size: 1
    .uses_dynamic_stack: false
    .vgpr_count:     139
    .vgpr_spill_count: 0
    .wavefront_size: 32
    .workgroup_processor_mode: 1
amdhsa.target:   amdgcn-amd-amdhsa--gfx1201
amdhsa.version:
  - 1
  - 2
...

	.end_amdgpu_metadata
